;; amdgpu-corpus repo=zjin-lcf/HeCBench kind=compiled arch=gfx1250 opt=O3
	.amdgcn_target "amdgcn-amd-amdhsa--gfx1250"
	.amdhsa_code_object_version 6
	.text
	.protected	_Z19bit_rev_permutationPlPKlj ; -- Begin function _Z19bit_rev_permutationPlPKlj
	.globl	_Z19bit_rev_permutationPlPKlj
	.p2align	8
	.type	_Z19bit_rev_permutationPlPKlj,@function
_Z19bit_rev_permutationPlPKlj:          ; @_Z19bit_rev_permutationPlPKlj
; %bb.0:
	s_clause 0x3
	s_load_b32 s3, s[0:1], 0x18
	s_load_b32 s8, s[0:1], 0x24
	;; [unrolled: 1-line block ×3, first 2 shown]
	s_load_b128 s[4:7], s[0:1], 0x0
	s_wait_kmcnt 0x0
	s_cmp_eq_u32 s3, 1
	s_cselect_b32 s1, -1, 0
	s_and_b32 s0, s8, 0xffff
	s_lshl_b32 s3, 1, s2
	s_delay_alu instid0(SALU_CYCLE_1) | instskip(SKIP_1) | instid1(SALU_CYCLE_1)
	s_cmp_eq_u32 s3, s0
	s_cselect_b32 s3, -1, 0
	s_and_b32 s1, s1, s3
	s_delay_alu instid0(SALU_CYCLE_1)
	s_and_not1_b32 vcc_lo, exec_lo, s1
	s_cbranch_vccz .LBB0_6
; %bb.1:
	s_bfe_u32 s1, ttmp6, 0x4000c
	s_and_b32 s3, ttmp6, 15
	s_add_co_i32 s1, s1, 1
	s_getreg_b32 s8, hwreg(HW_REG_IB_STS2, 6, 4)
	s_mul_i32 s1, ttmp9, s1
                                        ; implicit-def: $vgpr4_vgpr5
	s_delay_alu instid0(SALU_CYCLE_1) | instskip(SKIP_2) | instid1(SALU_CYCLE_1)
	s_add_co_i32 s3, s3, s1
	s_cmp_eq_u32 s8, 0
	s_cselect_b32 s1, ttmp9, s3
	v_mad_u32 v2, s1, s0, v0
	s_sub_co_i32 s0, 32, s2
	s_cmp_lg_u64 s[4:5], s[6:7]
	s_cselect_b32 s1, -1, 0
	s_delay_alu instid0(VALU_DEP_1) | instskip(NEXT) | instid1(VALU_DEP_1)
	v_bfrev_b32_e32 v1, v2
	v_lshrrev_b32_e32 v6, s0, v1
	s_delay_alu instid0(VALU_DEP_1)
	v_cmp_eq_u32_e32 vcc_lo, v2, v6
	v_cmp_lt_u32_e64 s0, v2, v6
	s_and_b32 s8, s1, vcc_lo
	s_mov_b32 s1, 0
	s_or_b32 s3, s0, s8
	s_mov_b32 s0, 0
	s_and_saveexec_b32 s9, s3
	s_delay_alu instid0(SALU_CYCLE_1)
	s_xor_b32 s3, exec_lo, s9
	s_cbranch_execz .LBB0_5
; %bb.2:
	global_load_b64 v[4:5], v2, s[6:7] scale_offset
	v_mov_b32_e32 v3, 0
	s_xor_b32 s8, s8, -1
	s_wait_xcnt 0x0
	s_and_saveexec_b32 s0, s8
	s_cbranch_execz .LBB0_4
; %bb.3:
	global_load_b64 v[8:9], v6, s[6:7] scale_offset
	v_mov_b32_e32 v7, v3
	v_lshl_add_u64 v[10:11], v[2:3], 3, s[4:5]
	s_delay_alu instid0(VALU_DEP_2)
	v_mov_b64_e32 v[2:3], v[6:7]
	s_wait_loadcnt 0x0
	global_store_b64 v[10:11], v[8:9], off
.LBB0_4:
	s_wait_xcnt 0x0
	s_or_b32 exec_lo, exec_lo, s0
	s_delay_alu instid0(SALU_CYCLE_1)
	s_mov_b32 s0, exec_lo
.LBB0_5:
	s_or_b32 exec_lo, exec_lo, s3
	s_delay_alu instid0(SALU_CYCLE_1)
	s_and_b32 vcc_lo, exec_lo, s1
	s_cbranch_vccnz .LBB0_7
	s_branch .LBB0_10
.LBB0_6:
	s_mov_b32 s0, 0
                                        ; implicit-def: $vgpr4_vgpr5
                                        ; implicit-def: $vgpr2_vgpr3
	s_cbranch_execz .LBB0_10
.LBB0_7:
	s_wait_loadcnt 0x0
	global_load_b64 v[4:5], v0, s[6:7] scale_offset
	s_cmp_lg_u64 s[4:5], s[6:7]
	s_cbranch_scc1 .LBB0_9
; %bb.8:
	s_wait_loadcnt 0x0
	s_wait_storecnt 0x0
	s_barrier_signal -1
	s_barrier_wait -1
.LBB0_9:
	s_wait_xcnt 0x0
	v_bfrev_b32_e32 v0, v0
	s_sub_co_i32 s0, 32, s2
	s_delay_alu instid0(VALU_DEP_1) | instid1(SALU_CYCLE_1)
	v_dual_mov_b32 v3, 0 :: v_dual_lshrrev_b32 v2, s0, v0
	s_mov_b32 s0, -1
.LBB0_10:
	s_delay_alu instid0(SALU_CYCLE_1)
	s_and_saveexec_b32 s1, s0
	s_cbranch_execnz .LBB0_12
; %bb.11:
	s_endpgm
.LBB0_12:
	s_delay_alu instid0(VALU_DEP_1)
	v_lshl_add_u64 v[0:1], v[2:3], 3, s[4:5]
	s_wait_loadcnt 0x0
	global_store_b64 v[0:1], v[4:5], off
	s_endpgm
	.section	.rodata,"a",@progbits
	.p2align	6, 0x0
	.amdhsa_kernel _Z19bit_rev_permutationPlPKlj
		.amdhsa_group_segment_fixed_size 0
		.amdhsa_private_segment_fixed_size 0
		.amdhsa_kernarg_size 280
		.amdhsa_user_sgpr_count 2
		.amdhsa_user_sgpr_dispatch_ptr 0
		.amdhsa_user_sgpr_queue_ptr 0
		.amdhsa_user_sgpr_kernarg_segment_ptr 1
		.amdhsa_user_sgpr_dispatch_id 0
		.amdhsa_user_sgpr_kernarg_preload_length 0
		.amdhsa_user_sgpr_kernarg_preload_offset 0
		.amdhsa_user_sgpr_private_segment_size 0
		.amdhsa_wavefront_size32 1
		.amdhsa_uses_dynamic_stack 0
		.amdhsa_enable_private_segment 0
		.amdhsa_system_sgpr_workgroup_id_x 1
		.amdhsa_system_sgpr_workgroup_id_y 0
		.amdhsa_system_sgpr_workgroup_id_z 0
		.amdhsa_system_sgpr_workgroup_info 0
		.amdhsa_system_vgpr_workitem_id 0
		.amdhsa_next_free_vgpr 12
		.amdhsa_next_free_sgpr 10
		.amdhsa_named_barrier_count 0
		.amdhsa_reserve_vcc 1
		.amdhsa_float_round_mode_32 0
		.amdhsa_float_round_mode_16_64 0
		.amdhsa_float_denorm_mode_32 3
		.amdhsa_float_denorm_mode_16_64 3
		.amdhsa_fp16_overflow 0
		.amdhsa_memory_ordered 1
		.amdhsa_forward_progress 1
		.amdhsa_inst_pref_size 4
		.amdhsa_round_robin_scheduling 0
		.amdhsa_exception_fp_ieee_invalid_op 0
		.amdhsa_exception_fp_denorm_src 0
		.amdhsa_exception_fp_ieee_div_zero 0
		.amdhsa_exception_fp_ieee_overflow 0
		.amdhsa_exception_fp_ieee_underflow 0
		.amdhsa_exception_fp_ieee_inexact 0
		.amdhsa_exception_int_div_zero 0
	.end_amdhsa_kernel
	.text
.Lfunc_end0:
	.size	_Z19bit_rev_permutationPlPKlj, .Lfunc_end0-_Z19bit_rev_permutationPlPKlj
                                        ; -- End function
	.set _Z19bit_rev_permutationPlPKlj.num_vgpr, 12
	.set _Z19bit_rev_permutationPlPKlj.num_agpr, 0
	.set _Z19bit_rev_permutationPlPKlj.numbered_sgpr, 10
	.set _Z19bit_rev_permutationPlPKlj.num_named_barrier, 0
	.set _Z19bit_rev_permutationPlPKlj.private_seg_size, 0
	.set _Z19bit_rev_permutationPlPKlj.uses_vcc, 1
	.set _Z19bit_rev_permutationPlPKlj.uses_flat_scratch, 0
	.set _Z19bit_rev_permutationPlPKlj.has_dyn_sized_stack, 0
	.set _Z19bit_rev_permutationPlPKlj.has_recursion, 0
	.set _Z19bit_rev_permutationPlPKlj.has_indirect_call, 0
	.section	.AMDGPU.csdata,"",@progbits
; Kernel info:
; codeLenInByte = 448
; TotalNumSgprs: 12
; NumVgprs: 12
; ScratchSize: 0
; MemoryBound: 0
; FloatMode: 240
; IeeeMode: 1
; LDSByteSize: 0 bytes/workgroup (compile time only)
; SGPRBlocks: 0
; VGPRBlocks: 0
; NumSGPRsForWavesPerEU: 12
; NumVGPRsForWavesPerEU: 12
; NamedBarCnt: 0
; Occupancy: 16
; WaveLimiterHint : 0
; COMPUTE_PGM_RSRC2:SCRATCH_EN: 0
; COMPUTE_PGM_RSRC2:USER_SGPR: 2
; COMPUTE_PGM_RSRC2:TRAP_HANDLER: 0
; COMPUTE_PGM_RSRC2:TGID_X_EN: 1
; COMPUTE_PGM_RSRC2:TGID_Y_EN: 0
; COMPUTE_PGM_RSRC2:TGID_Z_EN: 0
; COMPUTE_PGM_RSRC2:TIDIG_COMP_CNT: 0
	.text
	.protected	_Z21bit_rev_permutation_zPlPKlj ; -- Begin function _Z21bit_rev_permutation_zPlPKlj
	.globl	_Z21bit_rev_permutation_zPlPKlj
	.p2align	8
	.type	_Z21bit_rev_permutation_zPlPKlj,@function
_Z21bit_rev_permutation_zPlPKlj:        ; @_Z21bit_rev_permutation_zPlPKlj
; %bb.0:
	s_clause 0x1
	s_load_b32 s3, s[0:1], 0x10
	s_load_b32 s2, s[0:1], 0x24
	v_dual_lshlrev_b32 v1, 8, v0 :: v_dual_bitop2_b32 v101, 31, v0 bitop3:0x40
	s_clause 0x1
	s_load_b32 s40, s[0:1], 0x18
	s_load_b128 s[4:7], s[0:1], 0x0
	s_bfe_u32 s8, ttmp6, 0x4000c
	s_wait_xcnt 0x0
	s_and_b32 s1, ttmp6, 15
	v_bfrev_b32_e32 v2, v101
	v_and_b32_e32 v1, 0x3e000, v1
	s_add_co_i32 s8, s8, 1
	s_getreg_b32 s9, hwreg(HW_REG_IB_STS2, 6, 4)
	s_mul_i32 s8, ttmp9, s8
	v_dual_lshrrev_b32 v3, 24, v2 :: v_dual_lshrrev_b32 v2, 27, v2
	s_add_co_i32 s8, s1, s8
	s_mov_b32 s0, 0
	s_delay_alu instid0(VALU_DEP_1) | instskip(NEXT) | instid1(VALU_DEP_2)
	v_add3_u32 v1, 0, v1, v3
	v_mul_u32_u24_e32 v2, 0xf8, v2
	v_mov_b32_e32 v3, 0
	s_wait_kmcnt 0x0
	s_add_co_i32 s1, s3, -5
	s_and_b32 s41, s2, 0xffff
	s_cmp_eq_u32 s9, 0
	v_add_nc_u32_e32 v28, v1, v2
	s_cselect_b32 s42, ttmp9, s8
	s_mul_i32 s2, s40, s41
	s_mul_i32 s8, s42, s41
	s_add_co_i32 s42, s42, s40
	s_sub_co_i32 s3, 42, s3
	s_lshl_b32 s9, 1, s1
	s_lshl_b32 s10, 2, s1
	;; [unrolled: 1-line block ×31, first 2 shown]
	s_mul_i32 s41, s42, s41
	s_branch .LBB1_2
.LBB1_1:                                ;   in Loop: Header=BB1_2 Depth=1
	s_wait_xcnt 0x0
	s_or_b32 exec_lo, exec_lo, s42
	v_dual_add_nc_u32 v2, s41, v0 :: v_dual_add_nc_u32 v0, s2, v0
	s_delay_alu instid0(VALU_DEP_1) | instskip(NEXT) | instid1(VALU_DEP_1)
	v_lshrrev_b32_e32 v2, s1, v2
	v_cmp_ne_u32_e32 vcc_lo, 0, v2
	s_or_b32 s0, vcc_lo, s0
	s_delay_alu instid0(SALU_CYCLE_1)
	s_and_not1_b32 exec_lo, exec_lo, s0
	s_cbranch_execz .LBB1_69
.LBB1_2:                                ; =>This Inner Loop Header: Depth=1
	v_add_nc_u32_e32 v2, s8, v0
	s_mov_b32 s42, exec_lo
	s_delay_alu instid0(VALU_DEP_1) | instskip(NEXT) | instid1(VALU_DEP_1)
	v_lshrrev_b32_e32 v4, 5, v2
	v_bfrev_b32_e32 v5, v4
	s_delay_alu instid0(VALU_DEP_1) | instskip(NEXT) | instid1(VALU_DEP_1)
	v_lshrrev_b32_e32 v6, s3, v5
	v_cmpx_le_u32_e64 v4, v6
	s_cbranch_execz .LBB1_1
; %bb.3:                                ;   in Loop: Header=BB1_2 Depth=1
	v_and_or_b32 v2, 0xffffffe0, v2, v101
	v_lshl_or_b32 v5, v6, 5, v101
	v_cmp_ne_u32_e32 vcc_lo, v4, v6
	global_load_b64 v[8:9], v2, s[6:7] scale_offset
	s_wait_loadcnt 0x0
	scratch_store_b64 off, v[8:9], off      ; 8-byte Folded Spill
	ds_store_b64 v1, v[8:9]
	s_wait_xcnt 0x0
	s_and_saveexec_b32 s43, vcc_lo
	s_cbranch_execz .LBB1_5
; %bb.4:                                ;   in Loop: Header=BB1_2 Depth=1
	global_load_b64 v[6:7], v5, s[6:7] scale_offset
	s_wait_loadcnt 0x0
	scratch_store_b64 off, v[6:7], off      ; 8-byte Folded Spill
.LBB1_5:                                ;   in Loop: Header=BB1_2 Depth=1
	s_wait_xcnt 0x0
	s_or_b32 exec_lo, exec_lo, s43
	v_dual_add_nc_u32 v4, s9, v2 :: v_dual_add_nc_u32 v7, s9, v5
	global_load_b64 v[8:9], v4, s[6:7] scale_offset
	s_wait_loadcnt 0x0
	scratch_store_b64 off, v[8:9], off offset:8 ; 8-byte Folded Spill
	ds_store_b64 v1, v[8:9] offset:256
	s_wait_xcnt 0x0
	s_and_saveexec_b32 s43, vcc_lo
	s_cbranch_execz .LBB1_7
; %bb.6:                                ;   in Loop: Header=BB1_2 Depth=1
	global_load_b64 v[8:9], v7, s[6:7] scale_offset
	s_wait_loadcnt 0x0
	scratch_store_b64 off, v[8:9], off offset:8 ; 8-byte Folded Spill
.LBB1_7:                                ;   in Loop: Header=BB1_2 Depth=1
	s_wait_xcnt 0x0
	s_or_b32 exec_lo, exec_lo, s43
	v_dual_add_nc_u32 v6, s10, v2 :: v_dual_add_nc_u32 v9, s10, v5
	global_load_b64 v[10:11], v6, s[6:7] scale_offset
	s_wait_loadcnt 0x0
	scratch_store_b64 off, v[10:11], off offset:16 ; 8-byte Folded Spill
	ds_store_b64 v1, v[10:11] offset:512
	s_wait_xcnt 0x0
	s_and_saveexec_b32 s43, vcc_lo
	s_cbranch_execz .LBB1_9
; %bb.8:                                ;   in Loop: Header=BB1_2 Depth=1
	global_load_b64 v[10:11], v9, s[6:7] scale_offset
	s_wait_loadcnt 0x0
	scratch_store_b64 off, v[10:11], off offset:16 ; 8-byte Folded Spill
.LBB1_9:                                ;   in Loop: Header=BB1_2 Depth=1
	s_wait_xcnt 0x0
	s_or_b32 exec_lo, exec_lo, s43
	v_dual_add_nc_u32 v8, s11, v2 :: v_dual_add_nc_u32 v11, s11, v5
	global_load_b64 v[12:13], v8, s[6:7] scale_offset
	s_wait_loadcnt 0x0
	scratch_store_b64 off, v[12:13], off offset:32 ; 8-byte Folded Spill
	ds_store_b64 v1, v[12:13] offset:768
	s_wait_xcnt 0x0
	s_and_saveexec_b32 s43, vcc_lo
	s_cbranch_execz .LBB1_11
; %bb.10:                               ;   in Loop: Header=BB1_2 Depth=1
	global_load_b64 v[12:13], v11, s[6:7] scale_offset
	s_wait_loadcnt 0x0
	scratch_store_b64 off, v[12:13], off offset:32 ; 8-byte Folded Spill
.LBB1_11:                               ;   in Loop: Header=BB1_2 Depth=1
	s_wait_xcnt 0x0
	s_or_b32 exec_lo, exec_lo, s43
	v_dual_add_nc_u32 v10, s12, v2 :: v_dual_add_nc_u32 v13, s12, v5
	global_load_b64 v[14:15], v10, s[6:7] scale_offset
	s_wait_loadcnt 0x0
	scratch_store_b64 off, v[14:15], off offset:24 ; 8-byte Folded Spill
	ds_store_b64 v1, v[14:15] offset:1024
	s_wait_xcnt 0x0
	s_and_saveexec_b32 s43, vcc_lo
	s_cbranch_execz .LBB1_13
; %bb.12:                               ;   in Loop: Header=BB1_2 Depth=1
	global_load_b64 v[14:15], v13, s[6:7] scale_offset
	s_wait_loadcnt 0x0
	scratch_store_b64 off, v[14:15], off offset:24 ; 8-byte Folded Spill
.LBB1_13:                               ;   in Loop: Header=BB1_2 Depth=1
	s_wait_xcnt 0x0
	s_or_b32 exec_lo, exec_lo, s43
	v_dual_add_nc_u32 v12, s13, v2 :: v_dual_add_nc_u32 v15, s13, v5
	global_load_b64 v[40:41], v12, s[6:7] scale_offset
	s_wait_loadcnt 0x0
	ds_store_b64 v1, v[40:41] offset:1280
	s_wait_xcnt 0x0
	s_and_saveexec_b32 s43, vcc_lo
	s_cbranch_execz .LBB1_15
; %bb.14:                               ;   in Loop: Header=BB1_2 Depth=1
	global_load_b64 v[40:41], v15, s[6:7] scale_offset
.LBB1_15:                               ;   in Loop: Header=BB1_2 Depth=1
	s_wait_xcnt 0x0
	s_or_b32 exec_lo, exec_lo, s43
	v_dual_add_nc_u32 v14, s14, v2 :: v_dual_add_nc_u32 v17, s14, v5
	global_load_b64 v[46:47], v14, s[6:7] scale_offset
	s_wait_loadcnt 0x0
	ds_store_b64 v1, v[46:47] offset:1536
	s_wait_xcnt 0x0
	s_and_saveexec_b32 s43, vcc_lo
	s_cbranch_execz .LBB1_17
; %bb.16:                               ;   in Loop: Header=BB1_2 Depth=1
	global_load_b64 v[46:47], v17, s[6:7] scale_offset
.LBB1_17:                               ;   in Loop: Header=BB1_2 Depth=1
	;; [unrolled: 12-line block ×26, first 2 shown]
	s_wait_xcnt 0x0
	s_or_b32 exec_lo, exec_lo, s43
	v_dual_add_nc_u32 v100, s40, v2 :: v_dual_add_nc_u32 v24, s40, v5
	v_mov_b32_e32 v25, v3
	global_load_b64 v[20:21], v100, s[6:7] scale_offset
	s_wait_loadcnt 0x0
	ds_store_b64 v1, v[20:21] offset:7936
	s_wait_xcnt 0x0
	s_and_saveexec_b32 s43, vcc_lo
	s_cbranch_execz .LBB1_67
; %bb.66:                               ;   in Loop: Header=BB1_2 Depth=1
	v_lshl_add_u64 v[20:21], v[24:25], 3, s[6:7]
	global_load_b64 v[20:21], v[20:21], off
.LBB1_67:                               ;   in Loop: Header=BB1_2 Depth=1
	s_wait_xcnt 0x0
	s_or_b32 exec_lo, exec_lo, s43
	ds_load_2addr_b64 v[34:37], v28 offset1:1
	v_lshl_add_u64 v[24:25], v[24:25], 3, s[4:5]
	s_wait_dscnt 0x0
	s_clause 0x1
	global_store_b64 v5, v[34:35], s[4:5] scale_offset
	global_store_b64 v7, v[36:37], s[4:5] scale_offset
	s_wait_xcnt 0x0
	ds_load_2addr_b64 v[34:37], v28 offset0:2 offset1:3
	s_wait_dscnt 0x0
	s_clause 0x1
	global_store_b64 v9, v[34:35], s[4:5] scale_offset
	global_store_b64 v11, v[36:37], s[4:5] scale_offset
	s_wait_xcnt 0x0
	ds_load_2addr_b64 v[34:37], v28 offset0:4 offset1:5
	;; [unrolled: 6-line block ×15, first 2 shown]
	s_wait_dscnt 0x0
	s_clause 0x1
	global_store_b64 v97, v[34:35], s[4:5] scale_offset
	global_store_b64 v[24:25], v[36:37], off
	s_wait_xcnt 0x0
	s_and_b32 exec_lo, exec_lo, vcc_lo
	s_cbranch_execz .LBB1_1
; %bb.68:                               ;   in Loop: Header=BB1_2 Depth=1
	s_clause 0x1
	scratch_load_b64 v[24:25], off, off th:TH_LOAD_LU
	scratch_load_b64 v[34:35], off, off offset:8 th:TH_LOAD_LU
	v_dual_mov_b32 v45, v3 :: v_dual_mov_b32 v5, v3
	v_dual_mov_b32 v7, v3 :: v_dual_mov_b32 v9, v3
	;; [unrolled: 1-line block ×3, first 2 shown]
	v_mov_b32_e32 v15, v3
	s_delay_alu instid0(VALU_DEP_4) | instskip(NEXT) | instid1(VALU_DEP_4)
	v_lshl_add_u64 v[4:5], v[4:5], 3, s[4:5]
	v_lshl_add_u64 v[8:9], v[8:9], 3, s[4:5]
	s_delay_alu instid0(VALU_DEP_4)
	v_lshl_add_u64 v[10:11], v[10:11], 3, s[4:5]
	v_dual_mov_b32 v17, v3 :: v_dual_mov_b32 v19, v3
	v_lshl_add_u64 v[12:13], v[12:13], 3, s[4:5]
	v_lshl_add_u64 v[14:15], v[14:15], 3, s[4:5]
	v_dual_mov_b32 v23, v3 :: v_dual_mov_b32 v27, v3
	v_dual_mov_b32 v31, v3 :: v_dual_mov_b32 v33, v3
	;; [unrolled: 1-line block ×3, first 2 shown]
	s_delay_alu instid0(VALU_DEP_3) | instskip(NEXT) | instid1(VALU_DEP_4)
	v_lshl_add_u64 v[22:23], v[22:23], 3, s[4:5]
	v_lshl_add_u64 v[26:27], v[26:27], 3, s[4:5]
	s_delay_alu instid0(VALU_DEP_4)
	v_lshl_add_u64 v[30:31], v[30:31], 3, s[4:5]
	v_dual_mov_b32 v49, v3 :: v_dual_mov_b32 v51, v3
	v_dual_mov_b32 v57, v3 :: v_dual_mov_b32 v61, v3
	;; [unrolled: 1-line block ×7, first 2 shown]
	v_mov_b32_e32 v55, v3
	s_wait_loadcnt 0x0
	ds_store_2addr_b64 v1, v[24:25], v[34:35] offset1:32
	s_clause 0x1
	scratch_load_b64 v[24:25], off, off offset:16 th:TH_LOAD_LU
	scratch_load_b64 v[34:35], off, off offset:32 th:TH_LOAD_LU
	s_wait_loadcnt 0x0
	ds_store_2addr_b64 v1, v[24:25], v[34:35] offset0:64 offset1:96
	scratch_load_b64 v[34:35], off, off offset:24 th:TH_LOAD_LU ; 8-byte Folded Reload
	v_add_nc_u32_e32 v24, 0x800, v1
	v_add_nc_u32_e32 v25, 0x1000, v1
	s_wait_loadcnt 0x0
	ds_store_2addr_b64 v1, v[34:35], v[40:41] offset0:128 offset1:160
	ds_store_2addr_b64 v1, v[46:47], v[52:53] offset0:192 offset1:224
	ds_store_2addr_b64 v24, v[58:59], v[62:63] offset1:32
	ds_store_2addr_b64 v24, v[68:69], v[72:73] offset0:64 offset1:96
	ds_store_2addr_b64 v24, v[76:77], v[80:81] offset0:128 offset1:160
	;; [unrolled: 1-line block ×3, first 2 shown]
	v_add_nc_u32_e32 v24, 0x1800, v1
	ds_store_2addr_b64 v25, v[92:93], v[98:99] offset1:32
	ds_store_2addr_b64 v25, v[102:103], v[104:105] offset0:64 offset1:96
	ds_store_2addr_b64 v25, v[106:107], v[108:109] offset0:128 offset1:160
	;; [unrolled: 1-line block ×3, first 2 shown]
	ds_store_2addr_b64 v24, v[114:115], v[116:117] offset1:32
	ds_store_2addr_b64 v24, v[118:119], v[120:121] offset0:64 offset1:96
	ds_store_2addr_b64 v24, v[122:123], v[124:125] offset0:128 offset1:160
	;; [unrolled: 1-line block ×3, first 2 shown]
	ds_load_2addr_b64 v[34:37], v28 offset1:1
	ds_load_2addr_b64 v[90:93], v28 offset0:2 offset1:3
	ds_load_2addr_b64 v[102:105], v28 offset0:4 offset1:5
	ds_load_2addr_b64 v[106:109], v28 offset0:6 offset1:7
	v_lshl_add_u64 v[20:21], v[2:3], 3, s[4:5]
	v_lshl_add_u64 v[24:25], v[18:19], 3, s[4:5]
	v_dual_mov_b32 v2, v101 :: v_dual_mov_b32 v101, v3
	s_wait_dscnt 0x3
	s_clause 0x1
	global_store_b64 v[20:21], v[34:35], off
	global_store_b64 v[4:5], v[36:37], off
	s_wait_xcnt 0x1
	v_lshl_add_u64 v[20:21], v[6:7], 3, s[4:5]
	s_wait_xcnt 0x0
	ds_load_2addr_b64 v[4:7], v28 offset0:8 offset1:9
	ds_load_2addr_b64 v[34:37], v28 offset0:10 offset1:11
	s_wait_dscnt 0x4
	s_clause 0x1
	global_store_b64 v[20:21], v[90:91], off
	global_store_b64 v[8:9], v[92:93], off
	s_wait_dscnt 0x3
	s_clause 0x1
	global_store_b64 v[10:11], v[102:103], off
	global_store_b64 v[12:13], v[104:105], off
	s_wait_dscnt 0x2
	global_store_b64 v[14:15], v[106:107], off
	s_wait_xcnt 0x2
	ds_load_2addr_b64 v[8:11], v28 offset0:12 offset1:13
	s_wait_xcnt 0x0
	ds_load_2addr_b64 v[12:15], v28 offset0:14 offset1:15
	v_lshl_add_u64 v[20:21], v[16:17], 3, s[4:5]
	ds_load_2addr_b64 v[16:19], v28 offset0:16 offset1:17
	global_store_b64 v[20:21], v[108:109], off
	s_wait_dscnt 0x4
	s_clause 0x1
	global_store_b64 v[24:25], v[4:5], off
	global_store_b64 v[22:23], v[6:7], off
	s_wait_dscnt 0x3
	s_clause 0x1
	global_store_b64 v[26:27], v[34:35], off
	global_store_b64 v[30:31], v[36:37], off
	s_wait_xcnt 0x2
	ds_load_2addr_b64 v[4:7], v28 offset0:18 offset1:19
	ds_load_2addr_b64 v[20:23], v28 offset0:20 offset1:21
	v_lshl_add_u64 v[24:25], v[32:33], 3, s[4:5]
	s_wait_xcnt 0x1
	v_lshl_add_u64 v[26:27], v[38:39], 3, s[4:5]
	s_wait_xcnt 0x0
	v_lshl_add_u64 v[30:31], v[42:43], 3, s[4:5]
	v_lshl_add_u64 v[32:33], v[44:45], 3, s[4:5]
	;; [unrolled: 1-line block ×3, first 2 shown]
	s_wait_dscnt 0x4
	s_clause 0x1
	global_store_b64 v[24:25], v[8:9], off
	global_store_b64 v[26:27], v[10:11], off
	s_wait_dscnt 0x3
	s_clause 0x1
	global_store_b64 v[30:31], v[12:13], off
	global_store_b64 v[32:33], v[14:15], off
	s_wait_dscnt 0x2
	global_store_b64 v[34:35], v[16:17], off
	s_wait_xcnt 0x0
	v_lshl_add_u64 v[16:17], v[50:51], 3, s[4:5]
	ds_load_2addr_b64 v[8:11], v28 offset0:22 offset1:23
	ds_load_2addr_b64 v[12:15], v28 offset0:24 offset1:25
	v_lshl_add_u64 v[30:31], v[54:55], 3, s[4:5]
	v_lshl_add_u64 v[32:33], v[56:57], 3, s[4:5]
	global_store_b64 v[16:17], v[18:19], off
	s_wait_xcnt 0x0
	v_lshl_add_u64 v[16:17], v[60:61], 3, s[4:5]
	ds_load_2addr_b64 v[24:27], v28 offset0:26 offset1:27
	v_lshl_add_u64 v[34:35], v[82:83], 3, s[4:5]
	s_wait_dscnt 0x4
	s_clause 0x1
	global_store_b64 v[30:31], v[4:5], off
	global_store_b64 v[32:33], v[6:7], off
	s_wait_xcnt 0x0
	ds_load_2addr_b64 v[4:7], v28 offset0:28 offset1:29
	s_wait_dscnt 0x4
	global_store_b64 v[16:17], v[20:21], off
	s_wait_xcnt 0x0
	ds_load_2addr_b64 v[16:19], v28 offset0:30 offset1:31
	v_lshl_add_u64 v[30:31], v[66:67], 3, s[4:5]
	v_lshl_add_u64 v[20:21], v[64:65], 3, s[4:5]
	;; [unrolled: 1-line block ×3, first 2 shown]
	global_store_b64 v[30:31], v[22:23], off
	s_wait_xcnt 0x0
	v_lshl_add_u64 v[22:23], v[70:71], 3, s[4:5]
	v_lshl_add_u64 v[30:31], v[74:75], 3, s[4:5]
	s_wait_dscnt 0x4
	s_clause 0x1
	global_store_b64 v[20:21], v[8:9], off
	global_store_b64 v[22:23], v[10:11], off
	s_wait_dscnt 0x3
	s_clause 0x1
	global_store_b64 v[30:31], v[12:13], off
	global_store_b64 v[32:33], v[14:15], off
	s_wait_dscnt 0x2
	global_store_b64 v[34:35], v[24:25], off
	s_wait_xcnt 0x4
	v_lshl_add_u64 v[8:9], v[86:87], 3, s[4:5]
	v_lshl_add_u64 v[20:21], v[100:101], 3, s[4:5]
	v_mov_b32_e32 v101, v2
	s_wait_xcnt 0x3
	v_lshl_add_u64 v[10:11], v[88:89], 3, s[4:5]
	s_wait_xcnt 0x2
	v_lshl_add_u64 v[12:13], v[94:95], 3, s[4:5]
	;; [unrolled: 2-line block ×3, first 2 shown]
	global_store_b64 v[8:9], v[26:27], off
	s_wait_dscnt 0x1
	s_clause 0x1
	global_store_b64 v[10:11], v[4:5], off
	global_store_b64 v[12:13], v[6:7], off
	s_wait_dscnt 0x0
	s_clause 0x1
	global_store_b64 v[14:15], v[16:17], off
	global_store_b64 v[20:21], v[18:19], off
	s_branch .LBB1_1
.LBB1_69:
	s_sendmsg sendmsg(MSG_DEALLOC_VGPRS)
	s_endpgm
	.section	.rodata,"a",@progbits
	.p2align	6, 0x0
	.amdhsa_kernel _Z21bit_rev_permutation_zPlPKlj
		.amdhsa_group_segment_fixed_size 0
		.amdhsa_private_segment_fixed_size 44
		.amdhsa_kernarg_size 280
		.amdhsa_user_sgpr_count 2
		.amdhsa_user_sgpr_dispatch_ptr 0
		.amdhsa_user_sgpr_queue_ptr 0
		.amdhsa_user_sgpr_kernarg_segment_ptr 1
		.amdhsa_user_sgpr_dispatch_id 0
		.amdhsa_user_sgpr_kernarg_preload_length 0
		.amdhsa_user_sgpr_kernarg_preload_offset 0
		.amdhsa_user_sgpr_private_segment_size 0
		.amdhsa_wavefront_size32 1
		.amdhsa_uses_dynamic_stack 0
		.amdhsa_enable_private_segment 1
		.amdhsa_system_sgpr_workgroup_id_x 1
		.amdhsa_system_sgpr_workgroup_id_y 0
		.amdhsa_system_sgpr_workgroup_id_z 0
		.amdhsa_system_sgpr_workgroup_info 0
		.amdhsa_system_vgpr_workitem_id 0
		.amdhsa_next_free_vgpr 128
		.amdhsa_next_free_sgpr 44
		.amdhsa_named_barrier_count 0
		.amdhsa_reserve_vcc 1
		.amdhsa_float_round_mode_32 0
		.amdhsa_float_round_mode_16_64 0
		.amdhsa_float_denorm_mode_32 3
		.amdhsa_float_denorm_mode_16_64 3
		.amdhsa_fp16_overflow 0
		.amdhsa_memory_ordered 1
		.amdhsa_forward_progress 1
		.amdhsa_inst_pref_size 38
		.amdhsa_round_robin_scheduling 0
		.amdhsa_exception_fp_ieee_invalid_op 0
		.amdhsa_exception_fp_denorm_src 0
		.amdhsa_exception_fp_ieee_div_zero 0
		.amdhsa_exception_fp_ieee_overflow 0
		.amdhsa_exception_fp_ieee_underflow 0
		.amdhsa_exception_fp_ieee_inexact 0
		.amdhsa_exception_int_div_zero 0
	.end_amdhsa_kernel
	.text
.Lfunc_end1:
	.size	_Z21bit_rev_permutation_zPlPKlj, .Lfunc_end1-_Z21bit_rev_permutation_zPlPKlj
                                        ; -- End function
	.set _Z21bit_rev_permutation_zPlPKlj.num_vgpr, 128
	.set _Z21bit_rev_permutation_zPlPKlj.num_agpr, 0
	.set _Z21bit_rev_permutation_zPlPKlj.numbered_sgpr, 44
	.set _Z21bit_rev_permutation_zPlPKlj.num_named_barrier, 0
	.set _Z21bit_rev_permutation_zPlPKlj.private_seg_size, 44
	.set _Z21bit_rev_permutation_zPlPKlj.uses_vcc, 1
	.set _Z21bit_rev_permutation_zPlPKlj.uses_flat_scratch, 1
	.set _Z21bit_rev_permutation_zPlPKlj.has_dyn_sized_stack, 0
	.set _Z21bit_rev_permutation_zPlPKlj.has_recursion, 0
	.set _Z21bit_rev_permutation_zPlPKlj.has_indirect_call, 0
	.section	.AMDGPU.csdata,"",@progbits
; Kernel info:
; codeLenInByte = 4852
; TotalNumSgprs: 46
; NumVgprs: 128
; ScratchSize: 44
; MemoryBound: 0
; FloatMode: 240
; IeeeMode: 1
; LDSByteSize: 0 bytes/workgroup (compile time only)
; SGPRBlocks: 0
; VGPRBlocks: 7
; NumSGPRsForWavesPerEU: 46
; NumVGPRsForWavesPerEU: 128
; NamedBarCnt: 0
; Occupancy: 8
; WaveLimiterHint : 0
; COMPUTE_PGM_RSRC2:SCRATCH_EN: 1
; COMPUTE_PGM_RSRC2:USER_SGPR: 2
; COMPUTE_PGM_RSRC2:TRAP_HANDLER: 0
; COMPUTE_PGM_RSRC2:TGID_X_EN: 1
; COMPUTE_PGM_RSRC2:TGID_Y_EN: 0
; COMPUTE_PGM_RSRC2:TGID_Z_EN: 0
; COMPUTE_PGM_RSRC2:TIDIG_COMP_CNT: 0
	.text
	.p2alignl 7, 3214868480
	.fill 96, 4, 3214868480
	.section	.AMDGPU.gpr_maximums,"",@progbits
	.set amdgpu.max_num_vgpr, 0
	.set amdgpu.max_num_agpr, 0
	.set amdgpu.max_num_sgpr, 0
	.text
	.type	__hip_cuid_dfc833b74e66d0f4,@object ; @__hip_cuid_dfc833b74e66d0f4
	.section	.bss,"aw",@nobits
	.globl	__hip_cuid_dfc833b74e66d0f4
__hip_cuid_dfc833b74e66d0f4:
	.byte	0                               ; 0x0
	.size	__hip_cuid_dfc833b74e66d0f4, 1

	.ident	"AMD clang version 22.0.0git (https://github.com/RadeonOpenCompute/llvm-project roc-7.2.4 26084 f58b06dce1f9c15707c5f808fd002e18c2accf7e)"
	.section	".note.GNU-stack","",@progbits
	.addrsig
	.addrsig_sym __hip_cuid_dfc833b74e66d0f4
	.amdgpu_metadata
---
amdhsa.kernels:
  - .args:
      - .address_space:  global
        .offset:         0
        .size:           8
        .value_kind:     global_buffer
      - .address_space:  global
        .offset:         8
        .size:           8
        .value_kind:     global_buffer
      - .offset:         16
        .size:           4
        .value_kind:     by_value
      - .offset:         24
        .size:           4
        .value_kind:     hidden_block_count_x
      - .offset:         28
        .size:           4
        .value_kind:     hidden_block_count_y
      - .offset:         32
        .size:           4
        .value_kind:     hidden_block_count_z
      - .offset:         36
        .size:           2
        .value_kind:     hidden_group_size_x
      - .offset:         38
        .size:           2
        .value_kind:     hidden_group_size_y
      - .offset:         40
        .size:           2
        .value_kind:     hidden_group_size_z
      - .offset:         42
        .size:           2
        .value_kind:     hidden_remainder_x
      - .offset:         44
        .size:           2
        .value_kind:     hidden_remainder_y
      - .offset:         46
        .size:           2
        .value_kind:     hidden_remainder_z
      - .offset:         64
        .size:           8
        .value_kind:     hidden_global_offset_x
      - .offset:         72
        .size:           8
        .value_kind:     hidden_global_offset_y
      - .offset:         80
        .size:           8
        .value_kind:     hidden_global_offset_z
      - .offset:         88
        .size:           2
        .value_kind:     hidden_grid_dims
    .group_segment_fixed_size: 0
    .kernarg_segment_align: 8
    .kernarg_segment_size: 280
    .language:       OpenCL C
    .language_version:
      - 2
      - 0
    .max_flat_workgroup_size: 1024
    .name:           _Z19bit_rev_permutationPlPKlj
    .private_segment_fixed_size: 0
    .sgpr_count:     12
    .sgpr_spill_count: 0
    .symbol:         _Z19bit_rev_permutationPlPKlj.kd
    .uniform_work_group_size: 1
    .uses_dynamic_stack: false
    .vgpr_count:     12
    .vgpr_spill_count: 0
    .wavefront_size: 32
  - .args:
      - .address_space:  global
        .offset:         0
        .size:           8
        .value_kind:     global_buffer
      - .address_space:  global
        .offset:         8
        .size:           8
        .value_kind:     global_buffer
      - .offset:         16
        .size:           4
        .value_kind:     by_value
      - .offset:         24
        .size:           4
        .value_kind:     hidden_block_count_x
      - .offset:         28
        .size:           4
        .value_kind:     hidden_block_count_y
      - .offset:         32
        .size:           4
        .value_kind:     hidden_block_count_z
      - .offset:         36
        .size:           2
        .value_kind:     hidden_group_size_x
      - .offset:         38
        .size:           2
        .value_kind:     hidden_group_size_y
      - .offset:         40
        .size:           2
        .value_kind:     hidden_group_size_z
      - .offset:         42
        .size:           2
        .value_kind:     hidden_remainder_x
      - .offset:         44
        .size:           2
        .value_kind:     hidden_remainder_y
      - .offset:         46
        .size:           2
        .value_kind:     hidden_remainder_z
      - .offset:         64
        .size:           8
        .value_kind:     hidden_global_offset_x
      - .offset:         72
        .size:           8
        .value_kind:     hidden_global_offset_y
      - .offset:         80
        .size:           8
        .value_kind:     hidden_global_offset_z
      - .offset:         88
        .size:           2
        .value_kind:     hidden_grid_dims
      - .offset:         144
        .size:           4
        .value_kind:     hidden_dynamic_lds_size
    .group_segment_fixed_size: 0
    .kernarg_segment_align: 8
    .kernarg_segment_size: 280
    .language:       OpenCL C
    .language_version:
      - 2
      - 0
    .max_flat_workgroup_size: 1024
    .name:           _Z21bit_rev_permutation_zPlPKlj
    .private_segment_fixed_size: 44
    .sgpr_count:     46
    .sgpr_spill_count: 0
    .symbol:         _Z21bit_rev_permutation_zPlPKlj.kd
    .uniform_work_group_size: 1
    .uses_dynamic_stack: false
    .vgpr_count:     128
    .vgpr_spill_count: 20
    .wavefront_size: 32
amdhsa.target:   amdgcn-amd-amdhsa--gfx1250
amdhsa.version:
  - 1
  - 2
...

	.end_amdgpu_metadata
